;; amdgpu-corpus repo=ROCm/rocFFT kind=compiled arch=gfx906 opt=O3
	.text
	.amdgcn_target "amdgcn-amd-amdhsa--gfx906"
	.amdhsa_code_object_version 6
	.protected	bluestein_single_fwd_len12_dim1_half_op_CI_CI ; -- Begin function bluestein_single_fwd_len12_dim1_half_op_CI_CI
	.globl	bluestein_single_fwd_len12_dim1_half_op_CI_CI
	.p2align	8
	.type	bluestein_single_fwd_len12_dim1_half_op_CI_CI,@function
bluestein_single_fwd_len12_dim1_half_op_CI_CI: ; @bluestein_single_fwd_len12_dim1_half_op_CI_CI
; %bb.0:
	v_mul_u32_u24_e32 v1, 0x2aab, v0
	s_load_dwordx4 s[0:3], s[4:5], 0x28
	v_lshrrev_b32_e32 v3, 16, v1
	v_mad_u64_u32 v[1:2], s[6:7], s6, 21, v[3:4]
	v_mov_b32_e32 v2, 0
	s_waitcnt lgkmcnt(0)
	v_cmp_gt_u64_e32 vcc, s[0:1], v[1:2]
	s_and_saveexec_b64 s[0:1], vcc
	s_cbranch_execz .LBB0_15
; %bb.1:
	s_mov_b32 s0, 0x86186187
	v_mul_hi_u32 v2, v1, s0
	s_load_dwordx2 s[12:13], s[4:5], 0x0
	s_load_dwordx2 s[6:7], s[4:5], 0x38
	v_mul_lo_u16_e32 v3, 6, v3
	v_sub_u16_e32 v14, v0, v3
	v_sub_u32_e32 v4, v1, v2
	v_lshrrev_b32_e32 v4, 1, v4
	v_add_u32_e32 v2, v4, v2
	v_lshrrev_b32_e32 v2, 4, v2
	v_mul_lo_u32 v2, v2, 21
	v_cmp_gt_u16_e32 vcc, 2, v14
	v_lshlrev_b32_e32 v12, 2, v14
	v_or_b32_e32 v11, 2, v14
	v_sub_u32_e32 v0, v1, v2
	v_mul_u32_u24_e32 v13, 12, v0
	v_or_b32_e32 v0, v13, v14
	v_lshlrev_b32_e32 v15, 2, v0
	v_add_lshl_u32 v16, v13, v14, 2
	v_or_b32_e32 v10, 4, v14
	v_or_b32_e32 v9, 6, v14
	;; [unrolled: 1-line block ×4, first 2 shown]
	s_and_saveexec_b64 s[14:15], vcc
	s_cbranch_execz .LBB0_3
; %bb.2:
	s_load_dwordx2 s[0:1], s[4:5], 0x18
	v_mov_b32_e32 v20, s3
	s_waitcnt lgkmcnt(0)
	s_load_dwordx4 s[8:11], s[0:1], 0x0
	s_waitcnt lgkmcnt(0)
	v_mad_u64_u32 v[2:3], s[0:1], s10, v1, 0
	v_mad_u64_u32 v[4:5], s[0:1], s8, v14, 0
	;; [unrolled: 1-line block ×5, first 2 shown]
	v_mov_b32_e32 v3, v6
	v_lshlrev_b64 v[2:3], 2, v[2:3]
	v_mov_b32_e32 v5, v17
	v_add_co_u32_e64 v21, s[0:1], s2, v2
	v_mov_b32_e32 v2, v19
	v_addc_co_u32_e64 v22, s[0:1], v20, v3, s[0:1]
	v_mad_u64_u32 v[2:3], s[0:1], s9, v11, v[2:3]
	v_mad_u64_u32 v[6:7], s[0:1], s8, v10, 0
	v_lshlrev_b64 v[4:5], 2, v[4:5]
	v_mov_b32_e32 v19, v2
	v_add_co_u32_e64 v3, s[0:1], v21, v4
	v_mov_b32_e32 v2, v7
	v_addc_co_u32_e64 v4, s[0:1], v22, v5, s[0:1]
	v_lshlrev_b64 v[17:18], 2, v[18:19]
	v_mad_u64_u32 v[19:20], s[0:1], s9, v10, v[2:3]
	v_add_co_u32_e64 v17, s[0:1], v21, v17
	v_mov_b32_e32 v7, v19
	v_lshlrev_b64 v[5:6], 2, v[6:7]
	v_addc_co_u32_e64 v18, s[0:1], v22, v18, s[0:1]
	v_add_co_u32_e64 v5, s[0:1], v21, v5
	v_addc_co_u32_e64 v6, s[0:1], v22, v6, s[0:1]
	v_mad_u64_u32 v[19:20], s[0:1], s8, v9, 0
	global_load_dword v7, v[3:4], off
	global_load_dword v23, v[17:18], off
	;; [unrolled: 1-line block ×3, first 2 shown]
	global_load_dword v25, v12, s[12:13]
	global_load_dword v26, v12, s[12:13] offset:8
	global_load_dword v27, v12, s[12:13] offset:16
	v_mov_b32_e32 v2, v20
	v_mad_u64_u32 v[2:3], s[0:1], s9, v9, v[2:3]
	v_mad_u64_u32 v[3:4], s[0:1], s8, v8, 0
	v_mov_b32_e32 v20, v2
	v_lshlrev_b64 v[5:6], 2, v[19:20]
	v_mov_b32_e32 v2, v4
	v_mad_u64_u32 v[17:18], s[0:1], s9, v8, v[2:3]
	v_add_co_u32_e64 v5, s[0:1], v21, v5
	v_addc_co_u32_e64 v6, s[0:1], v22, v6, s[0:1]
	v_mov_b32_e32 v4, v17
	v_mad_u64_u32 v[17:18], s[0:1], s8, v0, 0
	v_lshlrev_b64 v[2:3], 2, v[3:4]
	global_load_dword v19, v12, s[12:13] offset:24
	global_load_dword v20, v[5:6], off
	v_mov_b32_e32 v4, v18
	v_mad_u64_u32 v[4:5], s[0:1], s9, v0, v[4:5]
	v_add_co_u32_e64 v2, s[0:1], v21, v2
	v_addc_co_u32_e64 v3, s[0:1], v22, v3, s[0:1]
	v_mov_b32_e32 v18, v4
	global_load_dword v5, v[2:3], off
	global_load_dword v6, v12, s[12:13] offset:32
	v_lshlrev_b64 v[2:3], 2, v[17:18]
	v_add_co_u32_e64 v2, s[0:1], v21, v2
	v_addc_co_u32_e64 v3, s[0:1], v22, v3, s[0:1]
	global_load_dword v4, v[2:3], off
	global_load_dword v17, v12, s[12:13] offset:40
	s_waitcnt vmcnt(11)
	v_lshrrev_b32_e32 v2, 16, v7
	s_waitcnt vmcnt(8)
	v_mul_f16_sdwa v3, v25, v7 dst_sel:DWORD dst_unused:UNUSED_PAD src0_sel:WORD_1 src1_sel:DWORD
	v_lshrrev_b32_e32 v18, 16, v23
	s_waitcnt vmcnt(7)
	v_mul_f16_sdwa v21, v26, v23 dst_sel:DWORD dst_unused:UNUSED_PAD src0_sel:WORD_1 src1_sel:DWORD
	v_fma_f16 v3, v25, v2, -v3
	v_mul_f16_sdwa v2, v25, v2 dst_sel:DWORD dst_unused:UNUSED_PAD src0_sel:WORD_1 src1_sel:DWORD
	v_mul_f16_sdwa v28, v26, v18 dst_sel:DWORD dst_unused:UNUSED_PAD src0_sel:WORD_1 src1_sel:DWORD
	v_fma_f16 v18, v26, v18, -v21
	v_fma_f16 v2, v25, v7, v2
	v_fma_f16 v7, v26, v23, v28
	v_pack_b32_f16 v2, v2, v3
	v_pack_b32_f16 v3, v7, v18
	v_lshrrev_b32_e32 v22, 16, v24
	s_waitcnt vmcnt(6)
	v_mul_f16_sdwa v21, v27, v22 dst_sel:DWORD dst_unused:UNUSED_PAD src0_sel:WORD_1 src1_sel:DWORD
	ds_write_b32 v15, v2
	ds_write_b32 v16, v3 offset:8
	v_mul_f16_sdwa v3, v27, v24 dst_sel:DWORD dst_unused:UNUSED_PAD src0_sel:WORD_1 src1_sel:DWORD
	v_fma_f16 v21, v27, v24, v21
	v_fma_f16 v3, v27, v22, -v3
	v_lshl_add_u32 v2, v13, 2, v12
	v_pack_b32_f16 v3, v21, v3
	s_waitcnt vmcnt(4)
	v_lshrrev_b32_e32 v7, 16, v20
	v_mul_f16_sdwa v18, v19, v7 dst_sel:DWORD dst_unused:UNUSED_PAD src0_sel:WORD_1 src1_sel:DWORD
	v_fma_f16 v18, v19, v20, v18
	v_mul_f16_sdwa v20, v19, v20 dst_sel:DWORD dst_unused:UNUSED_PAD src0_sel:WORD_1 src1_sel:DWORD
	v_fma_f16 v7, v19, v7, -v20
	v_pack_b32_f16 v7, v18, v7
	ds_write2_b32 v2, v3, v7 offset0:4 offset1:6
	s_waitcnt vmcnt(3)
	v_lshrrev_b32_e32 v3, 16, v5
	s_waitcnt vmcnt(2)
	v_mul_f16_sdwa v7, v6, v3 dst_sel:DWORD dst_unused:UNUSED_PAD src0_sel:WORD_1 src1_sel:DWORD
	v_fma_f16 v7, v6, v5, v7
	v_mul_f16_sdwa v5, v6, v5 dst_sel:DWORD dst_unused:UNUSED_PAD src0_sel:WORD_1 src1_sel:DWORD
	v_fma_f16 v3, v6, v3, -v5
	v_pack_b32_f16 v3, v7, v3
	s_waitcnt vmcnt(1)
	v_lshrrev_b32_e32 v5, 16, v4
	s_waitcnt vmcnt(0)
	v_mul_f16_sdwa v6, v17, v5 dst_sel:DWORD dst_unused:UNUSED_PAD src0_sel:WORD_1 src1_sel:DWORD
	v_fma_f16 v6, v17, v4, v6
	v_mul_f16_sdwa v4, v17, v4 dst_sel:DWORD dst_unused:UNUSED_PAD src0_sel:WORD_1 src1_sel:DWORD
	v_fma_f16 v4, v17, v5, -v4
	v_pack_b32_f16 v4, v6, v4
	ds_write2_b32 v2, v3, v4 offset0:8 offset1:10
.LBB0_3:
	s_or_b64 exec, exec, s[14:15]
	s_load_dwordx2 s[2:3], s[4:5], 0x20
	s_load_dwordx2 s[0:1], s[4:5], 0x8
	v_lshlrev_b32_e32 v18, 2, v13
	s_waitcnt lgkmcnt(0)
	s_barrier
	s_waitcnt lgkmcnt(0)
                                        ; implicit-def: $vgpr6
                                        ; implicit-def: $vgpr4
                                        ; implicit-def: $vgpr2
	s_and_saveexec_b64 s[4:5], vcc
	s_cbranch_execz .LBB0_5
; %bb.4:
	v_lshl_add_u32 v6, v14, 2, v18
	ds_read2_b32 v[2:3], v15 offset1:2
	ds_read2_b32 v[4:5], v6 offset0:4 offset1:6
	ds_read2_b32 v[6:7], v6 offset0:8 offset1:10
.LBB0_5:
	s_or_b64 exec, exec, s[4:5]
	s_waitcnt lgkmcnt(1)
	v_pk_add_f16 v19, v5, v3
	v_pk_add_f16 v17, v4, v2
	s_waitcnt lgkmcnt(0)
	v_pk_add_f16 v20, v7, v19
	v_pk_add_f16 v19, v6, v4
	v_pk_add_f16 v4, v4, v6 neg_lo:[0,1] neg_hi:[0,1]
	s_movk_i32 s4, 0x3aee
	v_pk_fma_f16 v2, v19, 0.5, v2 op_sel_hi:[1,0,1] neg_lo:[1,0,0] neg_hi:[1,0,0]
	v_pk_mul_f16 v4, v4, s4 op_sel_hi:[1,0]
	v_pk_add_f16 v17, v6, v17
	v_pk_add_f16 v6, v4, v2 op_sel:[1,0] op_sel_hi:[0,1]
	v_pk_add_f16 v23, v2, v4 op_sel:[0,1] op_sel_hi:[1,0] neg_lo:[0,1] neg_hi:[0,1]
	v_pk_add_f16 v4, v7, v5
	v_pk_fma_f16 v3, v4, 0.5, v3 op_sel_hi:[1,0,1] neg_lo:[1,0,0] neg_hi:[1,0,0]
	v_pk_add_f16 v4, v5, v7 neg_lo:[0,1] neg_hi:[0,1]
	s_mov_b32 s5, 0xffff
	v_pk_fma_f16 v5, v4, s4, v3 op_sel:[0,0,1] op_sel_hi:[1,0,0]
	v_pk_fma_f16 v3, v4, s4, v3 op_sel:[0,0,1] op_sel_hi:[1,0,0] neg_lo:[1,0,0] neg_hi:[1,0,0]
	v_bfi_b32 v4, s5, v5, v3
	v_lshrrev_b32_e32 v7, 16, v5
	s_mov_b32 s4, 0xbaee3aee
	v_pk_mul_f16 v19, v4, 0.5 op_sel_hi:[1,0]
	v_mul_f16_e32 v5, 0x3aee, v3
	v_pk_fma_f16 v19, v4, s4, v19 op_sel:[0,0,1] op_sel_hi:[1,1,0] neg_lo:[0,0,1] neg_hi:[0,0,1]
	v_mul_f16_e32 v4, 0xbaee, v7
	v_fma_f16 v5, v7, 0.5, v5
	v_fma_f16 v7, v3, 0.5, v4
	v_bfi_b32 v2, s5, v23, v6
	v_pack_b32_f16 v21, v7, v19
	v_pk_add_f16 v2, v2, v19
	v_sub_f16_e32 v4, v6, v5
	v_pk_add_f16 v3, v17, v20 neg_lo:[0,1] neg_hi:[0,1]
	v_pk_add_f16 v21, v23, v21 op_sel:[1,0] op_sel_hi:[0,1] neg_lo:[0,1] neg_hi:[0,1]
	v_sub_f16_sdwa v22, v6, v19 dst_sel:DWORD dst_unused:UNUSED_PAD src0_sel:WORD_1 src1_sel:WORD_1
	v_mul_lo_u16_e32 v19, 6, v14
	s_barrier
	s_and_saveexec_b64 s[4:5], vcc
	s_cbranch_execz .LBB0_7
; %bb.6:
	v_add_f16_sdwa v7, v23, v7 dst_sel:DWORD dst_unused:UNUSED_PAD src0_sel:WORD_1 src1_sel:DWORD
	v_add_f16_e32 v6, v6, v5
	v_add_lshl_u32 v23, v13, v19, 2
	v_pk_add_f16 v5, v20, v17
	v_pack_b32_f16 v6, v6, v7
	s_mov_b32 s8, 0x5040100
	ds_write2_b64 v23, v[5:6], v[2:3] offset1:1
	v_perm_b32 v5, v21, v4, s8
	v_alignbit_b32 v6, v22, v21, 16
	ds_write_b64 v23, v[5:6] offset:16
.LBB0_7:
	s_or_b64 exec, exec, s[4:5]
	s_load_dwordx4 s[8:11], s[2:3], 0x0
	s_waitcnt lgkmcnt(0)
	s_barrier
	global_load_dword v20, v12, s[0:1]
	ds_read2_b32 v[5:6], v16 offset1:6
	v_lshl_add_u32 v17, v14, 2, v18
	s_waitcnt lgkmcnt(0)
	v_lshrrev_b32_e32 v7, 16, v6
	v_lshrrev_b32_e32 v24, 16, v5
	s_waitcnt vmcnt(0)
	v_mul_f16_sdwa v23, v7, v20 dst_sel:DWORD dst_unused:UNUSED_PAD src0_sel:DWORD src1_sel:WORD_1
	v_mul_f16_sdwa v25, v6, v20 dst_sel:DWORD dst_unused:UNUSED_PAD src0_sel:DWORD src1_sel:WORD_1
	v_fma_f16 v6, v6, v20, -v23
	v_fma_f16 v23, v7, v20, v25
	v_sub_f16_e32 v7, v5, v6
	v_sub_f16_e32 v23, v24, v23
	v_fma_f16 v6, v5, 2.0, -v7
	v_fma_f16 v24, v24, 2.0, -v23
	v_pack_b32_f16 v5, v7, v23
	v_pack_b32_f16 v25, v6, v24
	ds_write2_b32 v17, v25, v5 offset1:6
	s_waitcnt lgkmcnt(0)
	s_barrier
	s_and_saveexec_b64 s[0:1], vcc
	s_cbranch_execz .LBB0_9
; %bb.8:
	global_load_dword v5, v12, s[12:13] offset:48
	s_add_u32 s2, s12, 48
	s_addc_u32 s3, s13, 0
	global_load_dword v25, v12, s[2:3] offset:8
	global_load_dword v29, v12, s[2:3] offset:16
	;; [unrolled: 1-line block ×5, first 2 shown]
	ds_read_b32 v26, v15
	s_waitcnt lgkmcnt(0)
	v_lshrrev_b32_e32 v27, 16, v26
	s_waitcnt vmcnt(5)
	v_mul_f16_sdwa v28, v27, v5 dst_sel:DWORD dst_unused:UNUSED_PAD src0_sel:DWORD src1_sel:WORD_1
	v_mul_f16_sdwa v33, v26, v5 dst_sel:DWORD dst_unused:UNUSED_PAD src0_sel:DWORD src1_sel:WORD_1
	v_fma_f16 v26, v26, v5, -v28
	v_fma_f16 v5, v27, v5, v33
	v_pack_b32_f16 v5, v26, v5
	ds_write_b32 v15, v5
	ds_read_b32 v5, v16 offset:8
	s_waitcnt lgkmcnt(0)
	v_lshrrev_b32_e32 v26, 16, v5
	s_waitcnt vmcnt(4)
	v_mul_f16_sdwa v27, v5, v25 dst_sel:DWORD dst_unused:UNUSED_PAD src0_sel:DWORD src1_sel:WORD_1
	v_mul_f16_sdwa v28, v26, v25 dst_sel:DWORD dst_unused:UNUSED_PAD src0_sel:DWORD src1_sel:WORD_1
	v_fma_f16 v26, v26, v25, v27
	v_fma_f16 v5, v5, v25, -v28
	v_pack_b32_f16 v5, v5, v26
	ds_write_b32 v16, v5 offset:8
	ds_read2_b32 v[25:26], v17 offset0:4 offset1:6
	ds_read2_b32 v[27:28], v17 offset0:8 offset1:10
	s_waitcnt lgkmcnt(1)
	v_lshrrev_b32_e32 v5, 16, v25
	s_waitcnt vmcnt(3)
	v_mul_f16_sdwa v33, v25, v29 dst_sel:DWORD dst_unused:UNUSED_PAD src0_sel:DWORD src1_sel:WORD_1
	v_lshrrev_b32_e32 v34, 16, v26
	s_waitcnt vmcnt(2)
	v_mul_f16_sdwa v35, v26, v30 dst_sel:DWORD dst_unused:UNUSED_PAD src0_sel:DWORD src1_sel:WORD_1
	s_waitcnt lgkmcnt(0)
	v_lshrrev_b32_e32 v36, 16, v27
	s_waitcnt vmcnt(1)
	v_mul_f16_sdwa v37, v27, v31 dst_sel:DWORD dst_unused:UNUSED_PAD src0_sel:DWORD src1_sel:WORD_1
	v_lshrrev_b32_e32 v38, 16, v28
	v_mul_f16_sdwa v40, v5, v29 dst_sel:DWORD dst_unused:UNUSED_PAD src0_sel:DWORD src1_sel:WORD_1
	v_fma_f16 v5, v5, v29, v33
	v_mul_f16_sdwa v33, v34, v30 dst_sel:DWORD dst_unused:UNUSED_PAD src0_sel:DWORD src1_sel:WORD_1
	s_waitcnt vmcnt(0)
	v_mul_f16_sdwa v39, v28, v32 dst_sel:DWORD dst_unused:UNUSED_PAD src0_sel:DWORD src1_sel:WORD_1
	v_fma_f16 v34, v34, v30, v35
	v_mul_f16_sdwa v35, v36, v31 dst_sel:DWORD dst_unused:UNUSED_PAD src0_sel:DWORD src1_sel:WORD_1
	v_fma_f16 v36, v36, v31, v37
	v_mul_f16_sdwa v37, v38, v32 dst_sel:DWORD dst_unused:UNUSED_PAD src0_sel:DWORD src1_sel:WORD_1
	v_fma_f16 v25, v25, v29, -v40
	v_fma_f16 v26, v26, v30, -v33
	v_fma_f16 v38, v38, v32, v39
	v_fma_f16 v27, v27, v31, -v35
	v_fma_f16 v28, v28, v32, -v37
	v_pack_b32_f16 v5, v25, v5
	v_pack_b32_f16 v25, v26, v34
	;; [unrolled: 1-line block ×4, first 2 shown]
	ds_write2_b32 v17, v5, v25 offset0:4 offset1:6
	ds_write2_b32 v17, v26, v27 offset0:8 offset1:10
.LBB0_9:
	s_or_b64 exec, exec, s[0:1]
	v_lshrrev_b32_e32 v25, 16, v2
	v_lshrrev_b32_e32 v5, 16, v21
	s_waitcnt lgkmcnt(0)
	s_barrier
	s_and_saveexec_b64 s[0:1], vcc
	s_cbranch_execz .LBB0_11
; %bb.10:
	ds_read2_b32 v[6:7], v15 offset1:2
	ds_read2_b32 v[2:3], v17 offset0:4 offset1:6
	ds_read2_b32 v[4:5], v17 offset0:8 offset1:10
	s_waitcnt lgkmcnt(2)
	v_lshrrev_b32_e32 v24, 16, v6
	v_lshrrev_b32_e32 v23, 16, v7
	s_waitcnt lgkmcnt(1)
	v_lshrrev_b32_e32 v25, 16, v2
	s_waitcnt lgkmcnt(0)
	v_lshrrev_b32_e32 v21, 16, v4
	v_lshrrev_b32_e32 v22, 16, v5
.LBB0_11:
	s_or_b64 exec, exec, s[0:1]
	s_barrier
	s_and_saveexec_b64 s[0:1], vcc
	s_cbranch_execz .LBB0_13
; %bb.12:
	v_add_f16_e32 v26, v21, v25
	v_add_f16_e32 v29, v5, v3
	v_add_f16_sdwa v32, v22, v3 dst_sel:DWORD dst_unused:UNUSED_PAD src0_sel:DWORD src1_sel:WORD_1
	v_fma_f16 v26, v26, -0.5, v24
	v_sub_f16_e32 v27, v2, v4
	s_mov_b32 s2, 0xbaee
	v_fma_f16 v29, v29, -0.5, v7
	v_sub_f16_sdwa v30, v3, v22 dst_sel:DWORD dst_unused:UNUSED_PAD src0_sel:WORD_1 src1_sel:DWORD
	s_movk_i32 s3, 0x3aee
	v_fma_f16 v32, v32, -0.5, v23
	v_sub_f16_e32 v33, v3, v5
	v_fma_f16 v28, v27, s2, v26
	v_fma_f16 v31, v30, s3, v29
	;; [unrolled: 1-line block ×6, first 2 shown]
	v_add_f16_e32 v24, v25, v24
	v_add_f16_e32 v33, v4, v2
	v_mul_f16_e32 v35, -0.5, v34
	v_mul_f16_e32 v30, 0.5, v29
	v_add_f16_e32 v24, v21, v24
	v_add_f16_sdwa v23, v3, v23 dst_sel:DWORD dst_unused:UNUSED_PAD src0_sel:WORD_1 src1_sel:DWORD
	v_fma_f16 v33, v33, -0.5, v6
	v_sub_f16_e32 v21, v25, v21
	v_mul_f16_e32 v34, 0xbaee, v34
	v_mul_f16_e32 v29, 0xbaee, v29
	v_add_f16_e32 v2, v2, v6
	v_add_f16_e32 v3, v3, v7
	v_fma_f16 v35, v31, s3, v35
	v_fma_f16 v30, v27, s3, v30
	v_add_f16_e32 v22, v22, v23
	v_fma_f16 v25, v21, s3, v33
	v_fma_f16 v31, v31, -0.5, v34
	v_fma_f16 v21, v21, s2, v33
	v_fma_f16 v27, v27, 0.5, v29
	v_add_f16_e32 v2, v4, v2
	v_add_f16_e32 v3, v5, v3
	v_sub_f16_e32 v23, v24, v22
	v_sub_f16_e32 v29, v21, v27
	;; [unrolled: 1-line block ×3, first 2 shown]
	v_add_f16_e32 v5, v28, v35
	v_add_f16_e32 v6, v26, v30
	;; [unrolled: 1-line block ×6, first 2 shown]
	v_sub_f16_e32 v36, v28, v35
	v_sub_f16_e32 v32, v26, v30
	;; [unrolled: 1-line block ×3, first 2 shown]
	v_lshl_add_u32 v18, v19, 2, v18
	v_pack_b32_f16 v2, v22, v5
	v_pack_b32_f16 v5, v21, v6
	;; [unrolled: 1-line block ×4, first 2 shown]
	ds_write2_b64 v18, v[4:5], v[2:3] offset1:1
	v_pack_b32_f16 v3, v34, v36
	v_pack_b32_f16 v2, v29, v32
	ds_write_b64 v18, v[2:3] offset:16
.LBB0_13:
	s_or_b64 exec, exec, s[0:1]
	s_waitcnt lgkmcnt(0)
	s_barrier
	ds_read2_b32 v[2:3], v16 offset1:6
	s_waitcnt lgkmcnt(0)
	v_lshrrev_b32_e32 v5, 16, v3
	v_mul_f16_sdwa v6, v20, v5 dst_sel:DWORD dst_unused:UNUSED_PAD src0_sel:WORD_1 src1_sel:DWORD
	v_fma_f16 v6, v20, v3, v6
	v_mul_f16_sdwa v3, v20, v3 dst_sel:DWORD dst_unused:UNUSED_PAD src0_sel:WORD_1 src1_sel:DWORD
	v_lshrrev_b32_e32 v4, 16, v2
	v_fma_f16 v3, v20, v5, -v3
	v_sub_f16_e32 v5, v2, v6
	v_sub_f16_e32 v3, v4, v3
	v_fma_f16 v2, v2, 2.0, -v5
	v_fma_f16 v4, v4, 2.0, -v3
	v_pack_b32_f16 v2, v2, v4
	v_pack_b32_f16 v3, v5, v3
	ds_write2_b32 v17, v2, v3 offset1:6
	s_waitcnt lgkmcnt(0)
	s_barrier
	s_and_b64 exec, exec, vcc
	s_cbranch_execz .LBB0_15
; %bb.14:
	global_load_dword v18, v12, s[12:13]
	global_load_dword v20, v12, s[12:13] offset:8
	ds_read_b32 v19, v15
	ds_read_b32 v22, v17 offset:8
	v_mad_u64_u32 v[3:4], s[0:1], s10, v1, 0
	v_mad_u64_u32 v[5:6], s[0:1], s8, v14, 0
	s_mov_b32 s14, 0x55555555
	s_mov_b32 s15, 0x3fb55555
	v_mad_u64_u32 v[15:16], s[0:1], s11, v1, v[4:5]
	s_waitcnt lgkmcnt(1)
	v_lshrrev_b32_e32 v1, 16, v19
	v_mad_u64_u32 v[6:7], s[0:1], s9, v14, v[6:7]
	s_movk_i32 s18, 0x1ff
	global_load_dword v23, v12, s[12:13] offset:16
	global_load_dword v24, v12, s[12:13] offset:24
	;; [unrolled: 1-line block ×4, first 2 shown]
	s_movk_i32 s17, 0xffe
	v_mov_b32_e32 v2, 0x7c00
	s_movk_i32 s16, 0x40f
	s_mov_b32 s10, 0x8000
	v_mov_b32_e32 v21, s7
	s_waitcnt vmcnt(5)
	v_mul_f16_sdwa v4, v1, v18 dst_sel:DWORD dst_unused:UNUSED_PAD src0_sel:DWORD src1_sel:WORD_1
	v_fma_f16 v4, v19, v18, v4
	v_mul_f16_sdwa v7, v19, v18 dst_sel:DWORD dst_unused:UNUSED_PAD src0_sel:DWORD src1_sel:WORD_1
	v_cvt_f32_f16_e32 v4, v4
	v_fma_f16 v1, v18, v1, -v7
	v_cvt_f32_f16_e32 v1, v1
	s_waitcnt lgkmcnt(0)
	v_lshrrev_b32_e32 v7, 16, v22
	v_cvt_f64_f32_e32 v[16:17], v4
	v_mov_b32_e32 v4, v15
	v_cvt_f64_f32_e32 v[14:15], v1
	s_waitcnt vmcnt(4)
	v_mul_f16_sdwa v1, v7, v20 dst_sel:DWORD dst_unused:UNUSED_PAD src0_sel:DWORD src1_sel:WORD_1
	v_mul_f64 v[16:17], v[16:17], s[14:15]
	v_fma_f16 v1, v22, v20, v1
	v_mul_f64 v[14:15], v[14:15], s[14:15]
	v_cvt_f32_f16_e32 v1, v1
	v_lshlrev_b64 v[3:4], 2, v[3:4]
	v_cvt_f64_f32_e32 v[18:19], v1
	v_and_or_b32 v1, v17, s18, v16
	v_cmp_ne_u32_e32 vcc, 0, v1
	v_and_or_b32 v14, v15, s18, v14
	v_lshrrev_b32_e32 v16, 8, v17
	v_bfe_u32 v27, v17, 20, 11
	v_cndmask_b32_e64 v1, 0, 1, vcc
	v_cmp_ne_u32_e32 vcc, 0, v14
	v_lshrrev_b32_e32 v28, 8, v15
	v_bfe_u32 v29, v15, 20, 11
	v_sub_u32_e32 v30, 0x3f1, v27
	v_cndmask_b32_e64 v14, 0, 1, vcc
	v_and_or_b32 v1, v16, s17, v1
	v_sub_u32_e32 v31, 0x3f1, v29
	v_med3_i32 v16, v30, 0, 13
	v_and_or_b32 v14, v28, s17, v14
	v_or_b32_e32 v30, 0x1000, v1
	v_add_u32_e32 v27, 0xfffffc10, v27
	v_med3_i32 v28, v31, 0, 13
	v_cmp_ne_u32_e32 vcc, 0, v1
	v_or_b32_e32 v32, 0x1000, v14
	v_lshrrev_b32_e32 v34, v16, v30
	v_add_u32_e32 v29, 0xfffffc10, v29
	v_lshl_or_b32 v31, v27, 12, v1
	v_cndmask_b32_e64 v1, 0, 1, vcc
	v_cmp_ne_u32_e32 vcc, 0, v14
	v_lshrrev_b32_e32 v35, v28, v32
	v_lshlrev_b32_e32 v16, v16, v34
	v_lshl_or_b32 v33, v29, 12, v14
	v_cndmask_b32_e64 v14, 0, 1, vcc
	v_lshlrev_b32_e32 v28, v28, v35
	v_cmp_ne_u32_e32 vcc, v16, v30
	v_cndmask_b32_e64 v16, 0, 1, vcc
	v_cmp_ne_u32_e32 vcc, v28, v32
	v_cndmask_b32_e64 v28, 0, 1, vcc
	v_or_b32_e32 v16, v34, v16
	v_cmp_gt_i32_e32 vcc, 1, v27
	v_cndmask_b32_e32 v16, v31, v16, vcc
	v_or_b32_e32 v28, v35, v28
	v_cmp_gt_i32_e32 vcc, 1, v29
	v_and_b32_e32 v30, 7, v16
	v_cndmask_b32_e32 v28, v33, v28, vcc
	v_cmp_lt_i32_e32 vcc, 5, v30
	v_cmp_eq_u32_e64 s[0:1], 3, v30
	v_lshrrev_b32_e32 v16, 2, v16
	v_and_b32_e32 v31, 7, v28
	s_or_b64 vcc, s[0:1], vcc
	v_cmp_lt_i32_e64 s[2:3], 5, v31
	v_cmp_eq_u32_e64 s[4:5], 3, v31
	v_addc_co_u32_e32 v16, vcc, 0, v16, vcc
	v_lshrrev_b32_e32 v28, 2, v28
	s_or_b64 vcc, s[4:5], s[2:3]
	v_addc_co_u32_e32 v28, vcc, 0, v28, vcc
	v_cmp_gt_i32_e32 vcc, 31, v27
	v_cndmask_b32_e32 v16, v2, v16, vcc
	v_cmp_gt_i32_e32 vcc, 31, v29
	v_lshl_or_b32 v1, v1, 9, v2
	v_cndmask_b32_e32 v28, v2, v28, vcc
	v_cmp_eq_u32_e32 vcc, s16, v27
	v_lshrrev_b32_e32 v17, 16, v17
	v_lshl_or_b32 v14, v14, 9, v2
	v_cndmask_b32_e32 v1, v16, v1, vcc
	v_cmp_eq_u32_e32 vcc, s16, v29
	v_lshrrev_b32_e32 v15, 16, v15
	v_cndmask_b32_e32 v14, v28, v14, vcc
	v_and_or_b32 v1, v17, s10, v1
	v_and_or_b32 v14, v15, s10, v14
	v_and_b32_e32 v1, 0xffff, v1
	v_lshl_or_b32 v1, v14, 16, v1
	v_mul_f64 v[14:15], v[18:19], s[14:15]
	v_add_co_u32_e32 v16, vcc, s6, v3
	v_addc_co_u32_e32 v17, vcc, v21, v4, vcc
	v_lshlrev_b64 v[3:4], 2, v[5:6]
	v_add_co_u32_e32 v3, vcc, v16, v3
	v_addc_co_u32_e32 v4, vcc, v17, v4, vcc
	global_store_dword v[3:4], v1, off
	v_and_or_b32 v1, v15, s18, v14
	v_cmp_ne_u32_e32 vcc, 0, v1
	v_cndmask_b32_e64 v1, 0, 1, vcc
	v_lshrrev_b32_e32 v3, 8, v15
	v_bfe_u32 v4, v15, 20, 11
	v_and_or_b32 v1, v3, s17, v1
	v_sub_u32_e32 v5, 0x3f1, v4
	v_or_b32_e32 v3, 0x1000, v1
	v_med3_i32 v5, v5, 0, 13
	v_lshrrev_b32_e32 v6, v5, v3
	v_lshlrev_b32_e32 v5, v5, v6
	v_cmp_ne_u32_e32 vcc, v5, v3
	v_cndmask_b32_e64 v3, 0, 1, vcc
	v_or_b32_e32 v3, v6, v3
	v_mul_f16_sdwa v6, v22, v20 dst_sel:DWORD dst_unused:UNUSED_PAD src0_sel:DWORD src1_sel:WORD_1
	v_fma_f16 v6, v20, v7, -v6
	v_add_u32_e32 v5, 0xfffffc10, v4
	v_cvt_f32_f16_e32 v6, v6
	v_lshl_or_b32 v4, v5, 12, v1
	v_cmp_gt_i32_e32 vcc, 1, v5
	v_cndmask_b32_e32 v3, v4, v3, vcc
	v_and_b32_e32 v4, 7, v3
	v_cmp_lt_i32_e32 vcc, 5, v4
	v_cmp_eq_u32_e64 s[0:1], 3, v4
	v_lshrrev_b32_e32 v7, 2, v3
	v_cvt_f64_f32_e32 v[3:4], v6
	s_or_b64 vcc, s[0:1], vcc
	v_addc_co_u32_e32 v6, vcc, 0, v7, vcc
	v_mul_f64 v[3:4], v[3:4], s[14:15]
	v_cmp_gt_i32_e32 vcc, 31, v5
	v_cndmask_b32_e32 v6, v2, v6, vcc
	v_cmp_ne_u32_e32 vcc, 0, v1
	v_cndmask_b32_e64 v1, 0, 1, vcc
	v_lshl_or_b32 v1, v1, 9, v2
	v_cmp_eq_u32_e32 vcc, s16, v5
	v_cndmask_b32_e32 v1, v6, v1, vcc
	v_lshrrev_b32_e32 v5, 16, v15
	v_and_or_b32 v14, v5, s10, v1
	v_and_or_b32 v1, v4, s18, v3
	v_cmp_ne_u32_e32 vcc, 0, v1
	v_cndmask_b32_e64 v1, 0, 1, vcc
	v_lshrrev_b32_e32 v3, 8, v4
	v_bfe_u32 v5, v4, 20, 11
	v_and_or_b32 v1, v3, s17, v1
	v_sub_u32_e32 v6, 0x3f1, v5
	v_or_b32_e32 v3, 0x1000, v1
	v_med3_i32 v6, v6, 0, 13
	v_lshrrev_b32_e32 v7, v6, v3
	v_lshlrev_b32_e32 v6, v6, v7
	v_cmp_ne_u32_e32 vcc, v6, v3
	v_cndmask_b32_e64 v3, 0, 1, vcc
	v_or_b32_e32 v3, v7, v3
	v_add_u32_e32 v7, 0xfffffc10, v5
	v_lshl_or_b32 v5, v7, 12, v1
	v_cmp_gt_i32_e32 vcc, 1, v7
	v_cndmask_b32_e32 v3, v5, v3, vcc
	v_and_b32_e32 v5, 7, v3
	v_cmp_lt_i32_e32 vcc, 5, v5
	v_cmp_eq_u32_e64 s[0:1], 3, v5
	v_lshl_add_u32 v15, v13, 2, v12
	v_lshrrev_b32_e32 v3, 2, v3
	s_or_b64 vcc, s[0:1], vcc
	ds_read2_b32 v[12:13], v15 offset0:4 offset1:6
	v_addc_co_u32_e32 v3, vcc, 0, v3, vcc
	v_cmp_gt_i32_e32 vcc, 31, v7
	v_mad_u64_u32 v[5:6], s[0:1], s8, v11, 0
	v_cndmask_b32_e32 v3, v2, v3, vcc
	v_cmp_ne_u32_e32 vcc, 0, v1
	v_cndmask_b32_e64 v1, 0, 1, vcc
	v_lshl_or_b32 v1, v1, 9, v2
	v_cmp_eq_u32_e32 vcc, s16, v7
	s_waitcnt lgkmcnt(0)
	v_lshrrev_b32_e32 v18, 16, v12
	v_cndmask_b32_e32 v3, v3, v1, vcc
	v_mov_b32_e32 v1, v6
	s_waitcnt vmcnt(4)
	v_mul_f16_sdwa v6, v18, v23 dst_sel:DWORD dst_unused:UNUSED_PAD src0_sel:DWORD src1_sel:WORD_1
	v_fma_f16 v6, v12, v23, v6
	v_cvt_f32_f16_e32 v19, v6
	v_mad_u64_u32 v[6:7], s[0:1], s9, v11, v[1:2]
	v_lshrrev_b32_e32 v1, 16, v4
	v_and_or_b32 v1, v1, s10, v3
	v_cvt_f64_f32_e32 v[3:4], v19
	v_lshlrev_b64 v[5:6], 2, v[5:6]
	v_and_b32_e32 v7, 0xffff, v14
	v_add_co_u32_e32 v5, vcc, v16, v5
	v_mul_f64 v[3:4], v[3:4], s[14:15]
	v_lshl_or_b32 v1, v1, 16, v7
	v_addc_co_u32_e32 v6, vcc, v17, v6, vcc
	global_store_dword v[5:6], v1, off
	v_mul_f16_sdwa v12, v12, v23 dst_sel:DWORD dst_unused:UNUSED_PAD src0_sel:DWORD src1_sel:WORD_1
	v_fma_f16 v12, v23, v18, -v12
	v_cvt_f32_f16_e32 v12, v12
	v_and_or_b32 v1, v4, s18, v3
	v_cmp_ne_u32_e32 vcc, 0, v1
	v_cndmask_b32_e64 v1, 0, 1, vcc
	v_lshrrev_b32_e32 v3, 8, v4
	v_bfe_u32 v7, v4, 20, 11
	v_and_or_b32 v1, v3, s17, v1
	v_sub_u32_e32 v11, 0x3f1, v7
	v_or_b32_e32 v3, 0x1000, v1
	v_med3_i32 v11, v11, 0, 13
	v_lshrrev_b32_e32 v14, v11, v3
	v_lshlrev_b32_e32 v11, v11, v14
	v_cmp_ne_u32_e32 vcc, v11, v3
	v_cndmask_b32_e64 v3, 0, 1, vcc
	v_add_u32_e32 v7, 0xfffffc10, v7
	v_or_b32_e32 v3, v14, v3
	v_lshl_or_b32 v11, v7, 12, v1
	v_cmp_gt_i32_e32 vcc, 1, v7
	v_cndmask_b32_e32 v3, v11, v3, vcc
	v_and_b32_e32 v11, 7, v3
	v_cmp_lt_i32_e32 vcc, 5, v11
	v_cmp_eq_u32_e64 s[0:1], 3, v11
	v_cvt_f64_f32_e32 v[11:12], v12
	v_lshrrev_b32_e32 v3, 2, v3
	s_or_b64 vcc, s[0:1], vcc
	v_addc_co_u32_e32 v3, vcc, 0, v3, vcc
	v_mul_f64 v[11:12], v[11:12], s[14:15]
	v_cmp_gt_i32_e32 vcc, 31, v7
	v_cndmask_b32_e32 v3, v2, v3, vcc
	v_cmp_ne_u32_e32 vcc, 0, v1
	v_cndmask_b32_e64 v1, 0, 1, vcc
	v_lshl_or_b32 v1, v1, 9, v2
	v_cmp_eq_u32_e32 vcc, s16, v7
	v_cndmask_b32_e32 v1, v3, v1, vcc
	v_lshrrev_b32_e32 v3, 16, v4
	v_and_or_b32 v7, v3, s10, v1
	v_and_or_b32 v1, v12, s18, v11
	v_cmp_ne_u32_e32 vcc, 0, v1
	v_cndmask_b32_e64 v1, 0, 1, vcc
	v_lshrrev_b32_e32 v3, 8, v12
	v_bfe_u32 v4, v12, 20, 11
	v_and_or_b32 v1, v3, s17, v1
	v_sub_u32_e32 v11, 0x3f1, v4
	v_or_b32_e32 v3, 0x1000, v1
	v_med3_i32 v11, v11, 0, 13
	v_lshrrev_b32_e32 v14, v11, v3
	v_lshlrev_b32_e32 v11, v11, v14
	v_cmp_ne_u32_e32 vcc, v11, v3
	v_cndmask_b32_e64 v3, 0, 1, vcc
	v_add_u32_e32 v11, 0xfffffc10, v4
	v_or_b32_e32 v3, v14, v3
	v_lshl_or_b32 v4, v11, 12, v1
	v_cmp_gt_i32_e32 vcc, 1, v11
	v_cndmask_b32_e32 v3, v4, v3, vcc
	v_and_b32_e32 v4, 7, v3
	v_cmp_lt_i32_e32 vcc, 5, v4
	v_cmp_eq_u32_e64 s[0:1], 3, v4
	v_lshrrev_b32_e32 v3, 2, v3
	s_or_b64 vcc, s[0:1], vcc
	v_addc_co_u32_e32 v3, vcc, 0, v3, vcc
	v_cmp_gt_i32_e32 vcc, 31, v11
	v_cndmask_b32_e32 v14, v2, v3, vcc
	v_mad_u64_u32 v[3:4], s[0:1], s8, v10, 0
	v_cmp_ne_u32_e32 vcc, 0, v1
	v_cndmask_b32_e64 v1, 0, 1, vcc
	ds_read2_b32 v[5:6], v15 offset0:8 offset1:10
	v_lshl_or_b32 v1, v1, 9, v2
	v_cmp_eq_u32_e32 vcc, s16, v11
	v_lshrrev_b32_e32 v15, 16, v13
	v_cndmask_b32_e32 v14, v14, v1, vcc
	v_mov_b32_e32 v1, v4
	s_waitcnt vmcnt(4)
	v_mul_f16_sdwa v4, v15, v24 dst_sel:DWORD dst_unused:UNUSED_PAD src0_sel:DWORD src1_sel:WORD_1
	v_fma_f16 v4, v13, v24, v4
	v_cvt_f32_f16_e32 v4, v4
	v_mad_u64_u32 v[10:11], s[0:1], s9, v10, v[1:2]
	v_lshrrev_b32_e32 v1, 16, v12
	v_cvt_f64_f32_e32 v[11:12], v4
	v_mov_b32_e32 v4, v10
	v_lshlrev_b64 v[3:4], 2, v[3:4]
	v_and_or_b32 v1, v1, s10, v14
	v_mul_f64 v[10:11], v[11:12], s[14:15]
	v_and_b32_e32 v7, 0xffff, v7
	v_add_co_u32_e32 v3, vcc, v16, v3
	v_lshl_or_b32 v1, v1, 16, v7
	v_addc_co_u32_e32 v4, vcc, v17, v4, vcc
	global_store_dword v[3:4], v1, off
	v_and_or_b32 v1, v11, s18, v10
	v_cmp_ne_u32_e32 vcc, 0, v1
	v_cndmask_b32_e64 v1, 0, 1, vcc
	v_lshrrev_b32_e32 v3, 8, v11
	v_bfe_u32 v4, v11, 20, 11
	v_and_or_b32 v1, v3, s17, v1
	v_sub_u32_e32 v7, 0x3f1, v4
	v_or_b32_e32 v3, 0x1000, v1
	v_med3_i32 v7, v7, 0, 13
	v_lshrrev_b32_e32 v10, v7, v3
	v_lshlrev_b32_e32 v7, v7, v10
	v_cmp_ne_u32_e32 vcc, v7, v3
	v_cndmask_b32_e64 v3, 0, 1, vcc
	v_or_b32_e32 v3, v10, v3
	v_mul_f16_sdwa v10, v13, v24 dst_sel:DWORD dst_unused:UNUSED_PAD src0_sel:DWORD src1_sel:WORD_1
	v_fma_f16 v10, v24, v15, -v10
	v_add_u32_e32 v7, 0xfffffc10, v4
	v_cvt_f32_f16_e32 v10, v10
	v_lshl_or_b32 v4, v7, 12, v1
	v_cmp_gt_i32_e32 vcc, 1, v7
	v_cndmask_b32_e32 v3, v4, v3, vcc
	v_and_b32_e32 v4, 7, v3
	v_cmp_lt_i32_e32 vcc, 5, v4
	v_cmp_eq_u32_e64 s[0:1], 3, v4
	v_lshrrev_b32_e32 v12, 2, v3
	v_cvt_f64_f32_e32 v[3:4], v10
	s_or_b64 vcc, s[0:1], vcc
	v_addc_co_u32_e32 v10, vcc, 0, v12, vcc
	v_mul_f64 v[3:4], v[3:4], s[14:15]
	v_cmp_gt_i32_e32 vcc, 31, v7
	v_cndmask_b32_e32 v10, v2, v10, vcc
	v_cmp_ne_u32_e32 vcc, 0, v1
	v_cndmask_b32_e64 v1, 0, 1, vcc
	v_lshl_or_b32 v1, v1, 9, v2
	v_cmp_eq_u32_e32 vcc, s16, v7
	v_cndmask_b32_e32 v1, v10, v1, vcc
	v_lshrrev_b32_e32 v7, 16, v11
	v_and_or_b32 v7, v7, s10, v1
	v_and_or_b32 v1, v4, s18, v3
	v_cmp_ne_u32_e32 vcc, 0, v1
	v_cndmask_b32_e64 v1, 0, 1, vcc
	v_lshrrev_b32_e32 v3, 8, v4
	v_bfe_u32 v10, v4, 20, 11
	v_and_or_b32 v1, v3, s17, v1
	v_sub_u32_e32 v11, 0x3f1, v10
	v_or_b32_e32 v3, 0x1000, v1
	v_med3_i32 v11, v11, 0, 13
	v_lshrrev_b32_e32 v12, v11, v3
	v_lshlrev_b32_e32 v11, v11, v12
	v_cmp_ne_u32_e32 vcc, v11, v3
	v_cndmask_b32_e64 v3, 0, 1, vcc
	v_or_b32_e32 v3, v12, v3
	v_add_u32_e32 v12, 0xfffffc10, v10
	v_lshl_or_b32 v10, v12, 12, v1
	v_cmp_gt_i32_e32 vcc, 1, v12
	v_cndmask_b32_e32 v3, v10, v3, vcc
	v_and_b32_e32 v10, 7, v3
	v_cmp_lt_i32_e32 vcc, 5, v10
	v_cmp_eq_u32_e64 s[0:1], 3, v10
	v_lshrrev_b32_e32 v3, 2, v3
	s_or_b64 vcc, s[0:1], vcc
	v_addc_co_u32_e32 v3, vcc, 0, v3, vcc
	v_cmp_gt_i32_e32 vcc, 31, v12
	v_cndmask_b32_e32 v3, v2, v3, vcc
	v_cmp_ne_u32_e32 vcc, 0, v1
	v_cndmask_b32_e64 v1, 0, 1, vcc
	v_lshl_or_b32 v1, v1, 9, v2
	v_cmp_eq_u32_e32 vcc, s16, v12
	s_waitcnt lgkmcnt(0)
	v_lshrrev_b32_e32 v14, 16, v5
	v_cndmask_b32_e32 v13, v3, v1, vcc
	s_waitcnt vmcnt(4)
	v_mul_f16_sdwa v3, v14, v25 dst_sel:DWORD dst_unused:UNUSED_PAD src0_sel:DWORD src1_sel:WORD_1
	v_mad_u64_u32 v[10:11], s[0:1], s8, v9, 0
	v_fma_f16 v3, v5, v25, v3
	v_cvt_f32_f16_e32 v3, v3
	v_mov_b32_e32 v1, v11
	v_mad_u64_u32 v[11:12], s[0:1], s9, v9, v[1:2]
	v_lshrrev_b32_e32 v1, 16, v4
	v_cvt_f64_f32_e32 v[3:4], v3
	v_lshlrev_b64 v[9:10], 2, v[10:11]
	v_and_or_b32 v1, v1, s10, v13
	v_and_b32_e32 v7, 0xffff, v7
	v_mul_f64 v[3:4], v[3:4], s[14:15]
	v_add_co_u32_e32 v9, vcc, v16, v9
	v_lshl_or_b32 v1, v1, 16, v7
	v_addc_co_u32_e32 v10, vcc, v17, v10, vcc
	global_store_dword v[9:10], v1, off
	v_mul_f16_sdwa v5, v5, v25 dst_sel:DWORD dst_unused:UNUSED_PAD src0_sel:DWORD src1_sel:WORD_1
	v_and_or_b32 v1, v4, s18, v3
	v_cmp_ne_u32_e32 vcc, 0, v1
	v_cndmask_b32_e64 v1, 0, 1, vcc
	v_lshrrev_b32_e32 v3, 8, v4
	v_bfe_u32 v7, v4, 20, 11
	v_and_or_b32 v1, v3, s17, v1
	v_sub_u32_e32 v9, 0x3f1, v7
	v_or_b32_e32 v3, 0x1000, v1
	v_med3_i32 v9, v9, 0, 13
	v_lshrrev_b32_e32 v10, v9, v3
	v_lshlrev_b32_e32 v9, v9, v10
	v_cmp_ne_u32_e32 vcc, v9, v3
	v_fma_f16 v5, v25, v14, -v5
	v_cndmask_b32_e64 v3, 0, 1, vcc
	v_add_u32_e32 v7, 0xfffffc10, v7
	v_cvt_f32_f16_e32 v5, v5
	v_or_b32_e32 v3, v10, v3
	v_lshl_or_b32 v9, v7, 12, v1
	v_cmp_gt_i32_e32 vcc, 1, v7
	v_cndmask_b32_e32 v3, v9, v3, vcc
	v_and_b32_e32 v9, 7, v3
	v_cmp_lt_i32_e32 vcc, 5, v9
	v_cmp_eq_u32_e64 s[0:1], 3, v9
	v_cvt_f64_f32_e32 v[9:10], v5
	v_lshrrev_b32_e32 v3, 2, v3
	s_or_b64 vcc, s[0:1], vcc
	v_addc_co_u32_e32 v3, vcc, 0, v3, vcc
	v_mul_f64 v[9:10], v[9:10], s[14:15]
	v_cmp_gt_i32_e32 vcc, 31, v7
	v_cndmask_b32_e32 v3, v2, v3, vcc
	v_cmp_ne_u32_e32 vcc, 0, v1
	v_cndmask_b32_e64 v1, 0, 1, vcc
	v_lshl_or_b32 v1, v1, 9, v2
	v_cmp_eq_u32_e32 vcc, s16, v7
	v_cndmask_b32_e32 v1, v3, v1, vcc
	v_lshrrev_b32_e32 v3, 16, v4
	v_and_or_b32 v11, v3, s10, v1
	v_and_or_b32 v1, v10, s18, v9
	v_cmp_ne_u32_e32 vcc, 0, v1
	v_cndmask_b32_e64 v1, 0, 1, vcc
	v_lshrrev_b32_e32 v3, 8, v10
	v_bfe_u32 v4, v10, 20, 11
	v_and_or_b32 v1, v3, s17, v1
	v_sub_u32_e32 v5, 0x3f1, v4
	v_or_b32_e32 v3, 0x1000, v1
	v_med3_i32 v5, v5, 0, 13
	v_lshrrev_b32_e32 v7, v5, v3
	v_lshlrev_b32_e32 v5, v5, v7
	v_cmp_ne_u32_e32 vcc, v5, v3
	v_cndmask_b32_e64 v3, 0, 1, vcc
	v_add_u32_e32 v5, 0xfffffc10, v4
	v_or_b32_e32 v3, v7, v3
	v_lshl_or_b32 v4, v5, 12, v1
	v_cmp_gt_i32_e32 vcc, 1, v5
	v_cndmask_b32_e32 v3, v4, v3, vcc
	v_and_b32_e32 v4, 7, v3
	v_cmp_lt_i32_e32 vcc, 5, v4
	v_cmp_eq_u32_e64 s[0:1], 3, v4
	v_lshrrev_b32_e32 v3, 2, v3
	s_or_b64 vcc, s[0:1], vcc
	v_addc_co_u32_e32 v3, vcc, 0, v3, vcc
	v_cmp_gt_i32_e32 vcc, 31, v5
	v_cndmask_b32_e32 v7, v2, v3, vcc
	v_mad_u64_u32 v[3:4], s[0:1], s8, v8, 0
	v_cmp_ne_u32_e32 vcc, 0, v1
	v_cndmask_b32_e64 v1, 0, 1, vcc
	v_lshl_or_b32 v1, v1, 9, v2
	v_cmp_eq_u32_e32 vcc, s16, v5
	v_lshrrev_b32_e32 v12, 16, v6
	v_cndmask_b32_e32 v9, v7, v1, vcc
	v_mov_b32_e32 v1, v4
	s_waitcnt vmcnt(4)
	v_mul_f16_sdwa v4, v12, v26 dst_sel:DWORD dst_unused:UNUSED_PAD src0_sel:DWORD src1_sel:WORD_1
	v_fma_f16 v4, v6, v26, v4
	v_cvt_f32_f16_e32 v7, v4
	v_mad_u64_u32 v[4:5], s[0:1], s9, v8, v[1:2]
	v_lshrrev_b32_e32 v1, 16, v10
	v_cvt_f64_f32_e32 v[7:8], v7
	v_lshlrev_b64 v[3:4], 2, v[3:4]
	v_and_or_b32 v1, v1, s10, v9
	v_and_b32_e32 v5, 0xffff, v11
	v_mul_f64 v[7:8], v[7:8], s[14:15]
	v_add_co_u32_e32 v3, vcc, v16, v3
	v_lshl_or_b32 v1, v1, 16, v5
	v_addc_co_u32_e32 v4, vcc, v17, v4, vcc
	global_store_dword v[3:4], v1, off
	v_mul_f16_sdwa v6, v6, v26 dst_sel:DWORD dst_unused:UNUSED_PAD src0_sel:DWORD src1_sel:WORD_1
	v_and_or_b32 v1, v8, s18, v7
	v_cmp_ne_u32_e32 vcc, 0, v1
	v_cndmask_b32_e64 v1, 0, 1, vcc
	v_lshrrev_b32_e32 v3, 8, v8
	v_bfe_u32 v4, v8, 20, 11
	v_and_or_b32 v1, v3, s17, v1
	v_sub_u32_e32 v5, 0x3f1, v4
	v_or_b32_e32 v3, 0x1000, v1
	v_med3_i32 v5, v5, 0, 13
	v_lshrrev_b32_e32 v7, v5, v3
	v_lshlrev_b32_e32 v5, v5, v7
	v_cmp_ne_u32_e32 vcc, v5, v3
	v_fma_f16 v6, v26, v12, -v6
	v_cndmask_b32_e64 v3, 0, 1, vcc
	v_add_u32_e32 v5, 0xfffffc10, v4
	v_cvt_f32_f16_e32 v6, v6
	v_or_b32_e32 v3, v7, v3
	v_lshl_or_b32 v4, v5, 12, v1
	v_cmp_gt_i32_e32 vcc, 1, v5
	v_cndmask_b32_e32 v3, v4, v3, vcc
	v_and_b32_e32 v4, 7, v3
	v_cmp_lt_i32_e32 vcc, 5, v4
	v_cmp_eq_u32_e64 s[0:1], 3, v4
	v_lshrrev_b32_e32 v7, 2, v3
	v_cvt_f64_f32_e32 v[3:4], v6
	s_or_b64 vcc, s[0:1], vcc
	v_addc_co_u32_e32 v6, vcc, 0, v7, vcc
	v_mul_f64 v[3:4], v[3:4], s[14:15]
	v_cmp_gt_i32_e32 vcc, 31, v5
	v_cndmask_b32_e32 v6, v2, v6, vcc
	v_cmp_ne_u32_e32 vcc, 0, v1
	v_cndmask_b32_e64 v1, 0, 1, vcc
	v_lshl_or_b32 v1, v1, 9, v2
	v_cmp_eq_u32_e32 vcc, s16, v5
	v_cndmask_b32_e32 v1, v6, v1, vcc
	v_lshrrev_b32_e32 v5, 16, v8
	v_and_or_b32 v7, v5, s10, v1
	v_and_or_b32 v1, v4, s18, v3
	v_cmp_ne_u32_e32 vcc, 0, v1
	v_cndmask_b32_e64 v1, 0, 1, vcc
	v_lshrrev_b32_e32 v3, 8, v4
	v_bfe_u32 v5, v4, 20, 11
	v_and_or_b32 v1, v3, s17, v1
	v_sub_u32_e32 v6, 0x3f1, v5
	v_or_b32_e32 v3, 0x1000, v1
	v_med3_i32 v6, v6, 0, 13
	v_lshrrev_b32_e32 v8, v6, v3
	v_lshlrev_b32_e32 v6, v6, v8
	v_cmp_ne_u32_e32 vcc, v6, v3
	v_cndmask_b32_e64 v3, 0, 1, vcc
	v_or_b32_e32 v3, v8, v3
	v_add_u32_e32 v8, 0xfffffc10, v5
	v_lshl_or_b32 v5, v8, 12, v1
	v_cmp_gt_i32_e32 vcc, 1, v8
	v_cndmask_b32_e32 v3, v5, v3, vcc
	v_and_b32_e32 v5, 7, v3
	v_cmp_lt_i32_e32 vcc, 5, v5
	v_cmp_eq_u32_e64 s[0:1], 3, v5
	v_lshrrev_b32_e32 v3, 2, v3
	s_or_b64 vcc, s[0:1], vcc
	v_addc_co_u32_e32 v3, vcc, 0, v3, vcc
	v_mad_u64_u32 v[5:6], s[0:1], s8, v0, 0
	v_cmp_gt_i32_e32 vcc, 31, v8
	v_cndmask_b32_e32 v3, v2, v3, vcc
	v_cmp_ne_u32_e32 vcc, 0, v1
	v_cndmask_b32_e64 v1, 0, 1, vcc
	v_lshl_or_b32 v2, v1, 9, v2
	v_mov_b32_e32 v1, v6
	v_mad_u64_u32 v[0:1], s[0:1], s9, v0, v[1:2]
	v_cmp_eq_u32_e32 vcc, s16, v8
	v_cndmask_b32_e32 v1, v3, v2, vcc
	v_lshrrev_b32_e32 v2, 16, v4
	v_and_or_b32 v1, v2, s10, v1
	v_mov_b32_e32 v6, v0
	v_and_b32_e32 v0, 0xffff, v7
	v_lshl_or_b32 v2, v1, 16, v0
	v_lshlrev_b64 v[0:1], 2, v[5:6]
	v_add_co_u32_e32 v0, vcc, v16, v0
	v_addc_co_u32_e32 v1, vcc, v17, v1, vcc
	global_store_dword v[0:1], v2, off
.LBB0_15:
	s_endpgm
	.section	.rodata,"a",@progbits
	.p2align	6, 0x0
	.amdhsa_kernel bluestein_single_fwd_len12_dim1_half_op_CI_CI
		.amdhsa_group_segment_fixed_size 1008
		.amdhsa_private_segment_fixed_size 0
		.amdhsa_kernarg_size 104
		.amdhsa_user_sgpr_count 6
		.amdhsa_user_sgpr_private_segment_buffer 1
		.amdhsa_user_sgpr_dispatch_ptr 0
		.amdhsa_user_sgpr_queue_ptr 0
		.amdhsa_user_sgpr_kernarg_segment_ptr 1
		.amdhsa_user_sgpr_dispatch_id 0
		.amdhsa_user_sgpr_flat_scratch_init 0
		.amdhsa_user_sgpr_private_segment_size 0
		.amdhsa_uses_dynamic_stack 0
		.amdhsa_system_sgpr_private_segment_wavefront_offset 0
		.amdhsa_system_sgpr_workgroup_id_x 1
		.amdhsa_system_sgpr_workgroup_id_y 0
		.amdhsa_system_sgpr_workgroup_id_z 0
		.amdhsa_system_sgpr_workgroup_info 0
		.amdhsa_system_vgpr_workitem_id 0
		.amdhsa_next_free_vgpr 41
		.amdhsa_next_free_sgpr 19
		.amdhsa_reserve_vcc 1
		.amdhsa_reserve_flat_scratch 0
		.amdhsa_float_round_mode_32 0
		.amdhsa_float_round_mode_16_64 0
		.amdhsa_float_denorm_mode_32 3
		.amdhsa_float_denorm_mode_16_64 3
		.amdhsa_dx10_clamp 1
		.amdhsa_ieee_mode 1
		.amdhsa_fp16_overflow 0
		.amdhsa_exception_fp_ieee_invalid_op 0
		.amdhsa_exception_fp_denorm_src 0
		.amdhsa_exception_fp_ieee_div_zero 0
		.amdhsa_exception_fp_ieee_overflow 0
		.amdhsa_exception_fp_ieee_underflow 0
		.amdhsa_exception_fp_ieee_inexact 0
		.amdhsa_exception_int_div_zero 0
	.end_amdhsa_kernel
	.text
.Lfunc_end0:
	.size	bluestein_single_fwd_len12_dim1_half_op_CI_CI, .Lfunc_end0-bluestein_single_fwd_len12_dim1_half_op_CI_CI
                                        ; -- End function
	.section	.AMDGPU.csdata,"",@progbits
; Kernel info:
; codeLenInByte = 5812
; NumSgprs: 23
; NumVgprs: 41
; ScratchSize: 0
; MemoryBound: 0
; FloatMode: 240
; IeeeMode: 1
; LDSByteSize: 1008 bytes/workgroup (compile time only)
; SGPRBlocks: 2
; VGPRBlocks: 10
; NumSGPRsForWavesPerEU: 23
; NumVGPRsForWavesPerEU: 41
; Occupancy: 5
; WaveLimiterHint : 1
; COMPUTE_PGM_RSRC2:SCRATCH_EN: 0
; COMPUTE_PGM_RSRC2:USER_SGPR: 6
; COMPUTE_PGM_RSRC2:TRAP_HANDLER: 0
; COMPUTE_PGM_RSRC2:TGID_X_EN: 1
; COMPUTE_PGM_RSRC2:TGID_Y_EN: 0
; COMPUTE_PGM_RSRC2:TGID_Z_EN: 0
; COMPUTE_PGM_RSRC2:TIDIG_COMP_CNT: 0
	.type	__hip_cuid_aeafffc7b38e1c9e,@object ; @__hip_cuid_aeafffc7b38e1c9e
	.section	.bss,"aw",@nobits
	.globl	__hip_cuid_aeafffc7b38e1c9e
__hip_cuid_aeafffc7b38e1c9e:
	.byte	0                               ; 0x0
	.size	__hip_cuid_aeafffc7b38e1c9e, 1

	.ident	"AMD clang version 19.0.0git (https://github.com/RadeonOpenCompute/llvm-project roc-6.4.0 25133 c7fe45cf4b819c5991fe208aaa96edf142730f1d)"
	.section	".note.GNU-stack","",@progbits
	.addrsig
	.addrsig_sym __hip_cuid_aeafffc7b38e1c9e
	.amdgpu_metadata
---
amdhsa.kernels:
  - .args:
      - .actual_access:  read_only
        .address_space:  global
        .offset:         0
        .size:           8
        .value_kind:     global_buffer
      - .actual_access:  read_only
        .address_space:  global
        .offset:         8
        .size:           8
        .value_kind:     global_buffer
      - .actual_access:  read_only
        .address_space:  global
        .offset:         16
        .size:           8
        .value_kind:     global_buffer
      - .actual_access:  read_only
        .address_space:  global
        .offset:         24
        .size:           8
        .value_kind:     global_buffer
      - .actual_access:  read_only
        .address_space:  global
        .offset:         32
        .size:           8
        .value_kind:     global_buffer
      - .offset:         40
        .size:           8
        .value_kind:     by_value
      - .address_space:  global
        .offset:         48
        .size:           8
        .value_kind:     global_buffer
      - .address_space:  global
        .offset:         56
        .size:           8
        .value_kind:     global_buffer
      - .address_space:  global
        .offset:         64
        .size:           8
        .value_kind:     global_buffer
      - .address_space:  global
        .offset:         72
        .size:           8
        .value_kind:     global_buffer
      - .offset:         80
        .size:           4
        .value_kind:     by_value
      - .address_space:  global
        .offset:         88
        .size:           8
        .value_kind:     global_buffer
      - .address_space:  global
        .offset:         96
        .size:           8
        .value_kind:     global_buffer
    .group_segment_fixed_size: 1008
    .kernarg_segment_align: 8
    .kernarg_segment_size: 104
    .language:       OpenCL C
    .language_version:
      - 2
      - 0
    .max_flat_workgroup_size: 126
    .name:           bluestein_single_fwd_len12_dim1_half_op_CI_CI
    .private_segment_fixed_size: 0
    .sgpr_count:     23
    .sgpr_spill_count: 0
    .symbol:         bluestein_single_fwd_len12_dim1_half_op_CI_CI.kd
    .uniform_work_group_size: 1
    .uses_dynamic_stack: false
    .vgpr_count:     41
    .vgpr_spill_count: 0
    .wavefront_size: 64
amdhsa.target:   amdgcn-amd-amdhsa--gfx906
amdhsa.version:
  - 1
  - 2
...

	.end_amdgpu_metadata
